;; amdgpu-corpus repo=zjin-lcf/HeCBench kind=compiled arch=gfx90a opt=O3
	.text
	.amdgcn_target "amdgcn-amd-amdhsa--gfx90a"
	.amdhsa_code_object_version 6
	.section	.text._Z9AoSKernelILi4096EEvPK9AppleTreePi,"axG",@progbits,_Z9AoSKernelILi4096EEvPK9AppleTreePi,comdat
	.protected	_Z9AoSKernelILi4096EEvPK9AppleTreePi ; -- Begin function _Z9AoSKernelILi4096EEvPK9AppleTreePi
	.globl	_Z9AoSKernelILi4096EEvPK9AppleTreePi
	.p2align	8
	.type	_Z9AoSKernelILi4096EEvPK9AppleTreePi,@function
_Z9AoSKernelILi4096EEvPK9AppleTreePi:   ; @_Z9AoSKernelILi4096EEvPK9AppleTreePi
; %bb.0:
	s_load_dword s7, s[4:5], 0x1c
	s_load_dwordx4 s[0:3], s[4:5], 0x0
	v_mov_b32_e32 v1, 0
	v_mov_b32_e32 v5, v1
	v_mov_b32_e32 v6, v1
	s_waitcnt lgkmcnt(0)
	s_and_b32 s4, s7, 0xffff
	s_mul_i32 s6, s6, s4
	v_add_u32_e32 v0, s6, v0
	v_lshlrev_b64 v[2:3], 14, v[0:1]
	v_mov_b32_e32 v4, s1
	v_add_co_u32_e32 v2, vcc, s0, v2
	v_addc_co_u32_e32 v3, vcc, v4, v3, vcc
	s_mov_b64 s[0:1], 0
	v_mov_b32_e32 v4, v1
	v_mov_b32_e32 v7, v1
.LBB0_1:                                ; =>This Inner Loop Header: Depth=1
	v_mov_b32_e32 v8, s1
	v_add_co_u32_e32 v60, vcc, s0, v2
	v_addc_co_u32_e32 v61, vcc, v3, v8, vcc
	global_load_dwordx4 v[8:11], v[60:61], off offset:16
	global_load_dwordx4 v[12:15], v[60:61], off
	global_load_dwordx4 v[16:19], v[60:61], off offset:48
	global_load_dwordx4 v[20:23], v[60:61], off offset:32
	;; [unrolled: 1-line block ×11, first 2 shown]
	s_add_u32 s0, s0, 0x100
	s_addc_u32 s1, s1, 0
	s_cmpk_lg_i32 s0, 0x4000
	s_waitcnt vmcnt(11)
	v_add3_u32 v12, v12, v4, v8
	v_add3_u32 v13, v13, v5, v9
	;; [unrolled: 1-line block ×4, first 2 shown]
	global_load_dwordx4 v[4:7], v[60:61], off offset:192
	global_load_dwordx4 v[8:11], v[60:61], off offset:240
	s_waitcnt vmcnt(11)
	v_add3_u32 v17, v21, v13, v17
	v_add3_u32 v16, v20, v12, v16
	;; [unrolled: 1-line block ×4, first 2 shown]
	global_load_dwordx4 v[12:15], v[60:61], off offset:224
	s_waitcnt vmcnt(10)
	v_add3_u32 v16, v28, v16, v24
	v_add3_u32 v17, v29, v17, v25
	v_add3_u32 v18, v30, v18, v26
	v_add3_u32 v19, v31, v19, v27
	s_waitcnt vmcnt(8)
	v_add3_u32 v17, v37, v17, v33
	v_add3_u32 v16, v36, v16, v32
	v_add3_u32 v19, v39, v19, v35
	v_add3_u32 v18, v38, v18, v34
	;; [unrolled: 5-line block ×3, first 2 shown]
	v_add3_u32 v17, v45, v17, v41
	v_add3_u32 v16, v44, v16, v40
	;; [unrolled: 1-line block ×4, first 2 shown]
	s_waitcnt vmcnt(2)
	v_add3_u32 v4, v4, v16, v56
	v_add3_u32 v5, v5, v17, v57
	;; [unrolled: 1-line block ×4, first 2 shown]
	s_waitcnt vmcnt(0)
	v_add3_u32 v5, v13, v5, v9
	v_add3_u32 v4, v12, v4, v8
	;; [unrolled: 1-line block ×4, first 2 shown]
	s_cbranch_scc1 .LBB0_1
; %bb.2:
	v_lshlrev_b64 v[0:1], 2, v[0:1]
	v_add_u32_e32 v2, v7, v5
	v_mov_b32_e32 v3, s3
	v_add_co_u32_e32 v0, vcc, s2, v0
	v_add3_u32 v2, v6, v4, v2
	v_addc_co_u32_e32 v1, vcc, v3, v1, vcc
	global_store_dword v[0:1], v2, off
	s_endpgm
	.section	.rodata,"a",@progbits
	.p2align	6, 0x0
	.amdhsa_kernel _Z9AoSKernelILi4096EEvPK9AppleTreePi
		.amdhsa_group_segment_fixed_size 0
		.amdhsa_private_segment_fixed_size 0
		.amdhsa_kernarg_size 272
		.amdhsa_user_sgpr_count 6
		.amdhsa_user_sgpr_private_segment_buffer 1
		.amdhsa_user_sgpr_dispatch_ptr 0
		.amdhsa_user_sgpr_queue_ptr 0
		.amdhsa_user_sgpr_kernarg_segment_ptr 1
		.amdhsa_user_sgpr_dispatch_id 0
		.amdhsa_user_sgpr_flat_scratch_init 0
		.amdhsa_user_sgpr_kernarg_preload_length 0
		.amdhsa_user_sgpr_kernarg_preload_offset 0
		.amdhsa_user_sgpr_private_segment_size 0
		.amdhsa_uses_dynamic_stack 0
		.amdhsa_system_sgpr_private_segment_wavefront_offset 0
		.amdhsa_system_sgpr_workgroup_id_x 1
		.amdhsa_system_sgpr_workgroup_id_y 0
		.amdhsa_system_sgpr_workgroup_id_z 0
		.amdhsa_system_sgpr_workgroup_info 0
		.amdhsa_system_vgpr_workitem_id 0
		.amdhsa_next_free_vgpr 62
		.amdhsa_next_free_sgpr 8
		.amdhsa_accum_offset 64
		.amdhsa_reserve_vcc 1
		.amdhsa_reserve_flat_scratch 0
		.amdhsa_float_round_mode_32 0
		.amdhsa_float_round_mode_16_64 0
		.amdhsa_float_denorm_mode_32 3
		.amdhsa_float_denorm_mode_16_64 3
		.amdhsa_dx10_clamp 1
		.amdhsa_ieee_mode 1
		.amdhsa_fp16_overflow 0
		.amdhsa_tg_split 0
		.amdhsa_exception_fp_ieee_invalid_op 0
		.amdhsa_exception_fp_denorm_src 0
		.amdhsa_exception_fp_ieee_div_zero 0
		.amdhsa_exception_fp_ieee_overflow 0
		.amdhsa_exception_fp_ieee_underflow 0
		.amdhsa_exception_fp_ieee_inexact 0
		.amdhsa_exception_int_div_zero 0
	.end_amdhsa_kernel
	.section	.text._Z9AoSKernelILi4096EEvPK9AppleTreePi,"axG",@progbits,_Z9AoSKernelILi4096EEvPK9AppleTreePi,comdat
.Lfunc_end0:
	.size	_Z9AoSKernelILi4096EEvPK9AppleTreePi, .Lfunc_end0-_Z9AoSKernelILi4096EEvPK9AppleTreePi
                                        ; -- End function
	.section	.AMDGPU.csdata,"",@progbits
; Kernel info:
; codeLenInByte = 568
; NumSgprs: 12
; NumVgprs: 62
; NumAgprs: 0
; TotalNumVgprs: 62
; ScratchSize: 0
; MemoryBound: 1
; FloatMode: 240
; IeeeMode: 1
; LDSByteSize: 0 bytes/workgroup (compile time only)
; SGPRBlocks: 1
; VGPRBlocks: 7
; NumSGPRsForWavesPerEU: 12
; NumVGPRsForWavesPerEU: 62
; AccumOffset: 64
; Occupancy: 8
; WaveLimiterHint : 0
; COMPUTE_PGM_RSRC2:SCRATCH_EN: 0
; COMPUTE_PGM_RSRC2:USER_SGPR: 6
; COMPUTE_PGM_RSRC2:TRAP_HANDLER: 0
; COMPUTE_PGM_RSRC2:TGID_X_EN: 1
; COMPUTE_PGM_RSRC2:TGID_Y_EN: 0
; COMPUTE_PGM_RSRC2:TGID_Z_EN: 0
; COMPUTE_PGM_RSRC2:TIDIG_COMP_CNT: 0
; COMPUTE_PGM_RSRC3_GFX90A:ACCUM_OFFSET: 15
; COMPUTE_PGM_RSRC3_GFX90A:TG_SPLIT: 0
	.section	.text._Z9SoAKernelILi4096EEvPK13ApplesOnTreesPi,"axG",@progbits,_Z9SoAKernelILi4096EEvPK13ApplesOnTreesPi,comdat
	.protected	_Z9SoAKernelILi4096EEvPK13ApplesOnTreesPi ; -- Begin function _Z9SoAKernelILi4096EEvPK13ApplesOnTreesPi
	.globl	_Z9SoAKernelILi4096EEvPK13ApplesOnTreesPi
	.p2align	8
	.type	_Z9SoAKernelILi4096EEvPK13ApplesOnTreesPi,@function
_Z9SoAKernelILi4096EEvPK13ApplesOnTreesPi: ; @_Z9SoAKernelILi4096EEvPK13ApplesOnTreesPi
; %bb.0:
	s_load_dword s0, s[4:5], 0x1c
	s_load_dwordx4 s[28:31], s[4:5], 0x0
	v_mov_b32_e32 v3, 0
	s_mov_b32 s35, 0
	s_movk_i32 s33, 0x1000
	s_waitcnt lgkmcnt(0)
	s_and_b32 s0, s0, 0xffff
	s_mul_i32 s6, s6, s0
	v_add_u32_e32 v2, s6, v0
	v_lshlrev_b64 v[0:1], 2, v[2:3]
	v_mov_b32_e32 v4, s29
	v_add_co_u32_e32 v2, vcc, s28, v0
	v_addc_co_u32_e32 v4, vcc, v4, v1, vcc
	s_mov_b32 s28, 1
	s_mov_b32 s34, s35
	v_mov_b32_e32 v5, v3
.LBB1_1:                                ; =>This Inner Loop Header: Depth=1
	s_lshl_b64 s[0:1], s[34:35], 14
	s_mov_b32 s29, s35
	s_add_i32 s2, s28, 2
	s_add_i32 s4, s34, 2
	s_mov_b32 s5, s35
	s_mov_b32 s3, s35
	s_add_i32 s6, s28, 4
	s_add_i32 s8, s34, 4
	s_mov_b32 s9, s35
	;; [unrolled: 4-line block ×7, first 2 shown]
	s_mov_b32 s27, s35
	v_mov_b32_e32 v7, s1
	v_add_co_u32_e32 v6, vcc, s0, v2
	s_lshl_b64 s[38:39], s[28:29], 14
	s_lshl_b64 s[4:5], s[4:5], 14
	;; [unrolled: 1-line block ×15, first 2 shown]
	v_addc_co_u32_e32 v7, vcc, v4, v7, vcc
	v_mov_b32_e32 v9, s39
	v_mov_b32_e32 v11, s5
	v_add_co_u32_e32 v8, vcc, s4, v2
	v_mov_b32_e32 v13, s3
	v_add_co_u32_e64 v10, s[0:1], s2, v2
	v_mov_b32_e32 v15, s9
	v_add_co_u32_e64 v12, s[2:3], s8, v2
	;; [unrolled: 2-line block ×13, first 2 shown]
	v_add_co_u32_e64 v36, s[26:27], s38, v2
	v_addc_co_u32_e64 v37, s[26:27], v4, v9, s[26:27]
	v_addc_co_u32_e32 v9, vcc, v4, v11, vcc
	v_addc_co_u32_e64 v11, vcc, v4, v13, s[0:1]
	v_addc_co_u32_e64 v13, vcc, v4, v15, s[2:3]
	;; [unrolled: 1-line block ×13, first 2 shown]
	global_load_dword v38, v[6:7], off
	global_load_dword v39, v[36:37], off
	;; [unrolled: 1-line block ×15, first 2 shown]
                                        ; kill: killed $vgpr30 killed $vgpr31
                                        ; kill: killed $vgpr8 killed $vgpr9
                                        ; kill: killed $vgpr16 killed $vgpr17
                                        ; kill: killed $vgpr34 killed $vgpr35
                                        ; kill: killed $vgpr24 killed $vgpr25
                                        ; kill: killed $vgpr10 killed $vgpr11
                                        ; kill: killed $vgpr6 killed $vgpr7
                                        ; kill: killed $vgpr18 killed $vgpr19
                                        ; kill: killed $vgpr12 killed $vgpr13
                                        ; kill: killed $vgpr26 killed $vgpr27
                                        ; kill: killed $vgpr20 killed $vgpr21
                                        ; kill: killed $vgpr36 killed $vgpr37
                                        ; kill: killed $vgpr28 killed $vgpr29
                                        ; kill: killed $vgpr14 killed $vgpr15
                                        ; kill: killed $vgpr22 killed $vgpr23
	global_load_dword v6, v[32:33], off
	s_add_i32 s34, s34, 16
	s_add_i32 s33, s33, -16
	s_add_i32 s28, s28, 16
	s_cmp_lg_u32 s33, 0
	s_waitcnt vmcnt(13)
	v_add3_u32 v3, v38, v3, v40
	s_waitcnt vmcnt(12)
	v_add3_u32 v5, v39, v5, v41
	;; [unrolled: 2-line block ×8, first 2 shown]
	s_cbranch_scc1 .LBB1_1
; %bb.2:
	v_add_u32_e32 v2, v3, v5
	v_mov_b32_e32 v3, s31
	v_add_co_u32_e32 v0, vcc, s30, v0
	v_addc_co_u32_e32 v1, vcc, v3, v1, vcc
	global_store_dword v[0:1], v2, off
	s_endpgm
	.section	.rodata,"a",@progbits
	.p2align	6, 0x0
	.amdhsa_kernel _Z9SoAKernelILi4096EEvPK13ApplesOnTreesPi
		.amdhsa_group_segment_fixed_size 0
		.amdhsa_private_segment_fixed_size 0
		.amdhsa_kernarg_size 272
		.amdhsa_user_sgpr_count 6
		.amdhsa_user_sgpr_private_segment_buffer 1
		.amdhsa_user_sgpr_dispatch_ptr 0
		.amdhsa_user_sgpr_queue_ptr 0
		.amdhsa_user_sgpr_kernarg_segment_ptr 1
		.amdhsa_user_sgpr_dispatch_id 0
		.amdhsa_user_sgpr_flat_scratch_init 0
		.amdhsa_user_sgpr_kernarg_preload_length 0
		.amdhsa_user_sgpr_kernarg_preload_offset 0
		.amdhsa_user_sgpr_private_segment_size 0
		.amdhsa_uses_dynamic_stack 0
		.amdhsa_system_sgpr_private_segment_wavefront_offset 0
		.amdhsa_system_sgpr_workgroup_id_x 1
		.amdhsa_system_sgpr_workgroup_id_y 0
		.amdhsa_system_sgpr_workgroup_id_z 0
		.amdhsa_system_sgpr_workgroup_info 0
		.amdhsa_system_vgpr_workitem_id 0
		.amdhsa_next_free_vgpr 53
		.amdhsa_next_free_sgpr 40
		.amdhsa_accum_offset 56
		.amdhsa_reserve_vcc 1
		.amdhsa_reserve_flat_scratch 0
		.amdhsa_float_round_mode_32 0
		.amdhsa_float_round_mode_16_64 0
		.amdhsa_float_denorm_mode_32 3
		.amdhsa_float_denorm_mode_16_64 3
		.amdhsa_dx10_clamp 1
		.amdhsa_ieee_mode 1
		.amdhsa_fp16_overflow 0
		.amdhsa_tg_split 0
		.amdhsa_exception_fp_ieee_invalid_op 0
		.amdhsa_exception_fp_denorm_src 0
		.amdhsa_exception_fp_ieee_div_zero 0
		.amdhsa_exception_fp_ieee_overflow 0
		.amdhsa_exception_fp_ieee_underflow 0
		.amdhsa_exception_fp_ieee_inexact 0
		.amdhsa_exception_int_div_zero 0
	.end_amdhsa_kernel
	.section	.text._Z9SoAKernelILi4096EEvPK13ApplesOnTreesPi,"axG",@progbits,_Z9SoAKernelILi4096EEvPK13ApplesOnTreesPi,comdat
.Lfunc_end1:
	.size	_Z9SoAKernelILi4096EEvPK13ApplesOnTreesPi, .Lfunc_end1-_Z9SoAKernelILi4096EEvPK13ApplesOnTreesPi
                                        ; -- End function
	.section	.AMDGPU.csdata,"",@progbits
; Kernel info:
; codeLenInByte = 836
; NumSgprs: 44
; NumVgprs: 53
; NumAgprs: 0
; TotalNumVgprs: 53
; ScratchSize: 0
; MemoryBound: 0
; FloatMode: 240
; IeeeMode: 1
; LDSByteSize: 0 bytes/workgroup (compile time only)
; SGPRBlocks: 5
; VGPRBlocks: 6
; NumSGPRsForWavesPerEU: 44
; NumVGPRsForWavesPerEU: 53
; AccumOffset: 56
; Occupancy: 8
; WaveLimiterHint : 0
; COMPUTE_PGM_RSRC2:SCRATCH_EN: 0
; COMPUTE_PGM_RSRC2:USER_SGPR: 6
; COMPUTE_PGM_RSRC2:TRAP_HANDLER: 0
; COMPUTE_PGM_RSRC2:TGID_X_EN: 1
; COMPUTE_PGM_RSRC2:TGID_Y_EN: 0
; COMPUTE_PGM_RSRC2:TGID_Z_EN: 0
; COMPUTE_PGM_RSRC2:TIDIG_COMP_CNT: 0
; COMPUTE_PGM_RSRC3_GFX90A:ACCUM_OFFSET: 13
; COMPUTE_PGM_RSRC3_GFX90A:TG_SPLIT: 0
	.text
	.p2alignl 6, 3212836864
	.fill 256, 4, 3212836864
	.type	__hip_cuid_915504743fe23194,@object ; @__hip_cuid_915504743fe23194
	.section	.bss,"aw",@nobits
	.globl	__hip_cuid_915504743fe23194
__hip_cuid_915504743fe23194:
	.byte	0                               ; 0x0
	.size	__hip_cuid_915504743fe23194, 1

	.ident	"AMD clang version 19.0.0git (https://github.com/RadeonOpenCompute/llvm-project roc-6.4.0 25133 c7fe45cf4b819c5991fe208aaa96edf142730f1d)"
	.section	".note.GNU-stack","",@progbits
	.addrsig
	.addrsig_sym __hip_cuid_915504743fe23194
	.amdgpu_metadata
---
amdhsa.kernels:
  - .agpr_count:     0
    .args:
      - .actual_access:  read_only
        .address_space:  global
        .offset:         0
        .size:           8
        .value_kind:     global_buffer
      - .actual_access:  write_only
        .address_space:  global
        .offset:         8
        .size:           8
        .value_kind:     global_buffer
      - .offset:         16
        .size:           4
        .value_kind:     hidden_block_count_x
      - .offset:         20
        .size:           4
        .value_kind:     hidden_block_count_y
      - .offset:         24
        .size:           4
        .value_kind:     hidden_block_count_z
      - .offset:         28
        .size:           2
        .value_kind:     hidden_group_size_x
      - .offset:         30
        .size:           2
        .value_kind:     hidden_group_size_y
      - .offset:         32
        .size:           2
        .value_kind:     hidden_group_size_z
      - .offset:         34
        .size:           2
        .value_kind:     hidden_remainder_x
      - .offset:         36
        .size:           2
        .value_kind:     hidden_remainder_y
      - .offset:         38
        .size:           2
        .value_kind:     hidden_remainder_z
      - .offset:         56
        .size:           8
        .value_kind:     hidden_global_offset_x
      - .offset:         64
        .size:           8
        .value_kind:     hidden_global_offset_y
      - .offset:         72
        .size:           8
        .value_kind:     hidden_global_offset_z
      - .offset:         80
        .size:           2
        .value_kind:     hidden_grid_dims
    .group_segment_fixed_size: 0
    .kernarg_segment_align: 8
    .kernarg_segment_size: 272
    .language:       OpenCL C
    .language_version:
      - 2
      - 0
    .max_flat_workgroup_size: 1024
    .name:           _Z9AoSKernelILi4096EEvPK9AppleTreePi
    .private_segment_fixed_size: 0
    .sgpr_count:     12
    .sgpr_spill_count: 0
    .symbol:         _Z9AoSKernelILi4096EEvPK9AppleTreePi.kd
    .uniform_work_group_size: 1
    .uses_dynamic_stack: false
    .vgpr_count:     62
    .vgpr_spill_count: 0
    .wavefront_size: 64
  - .agpr_count:     0
    .args:
      - .actual_access:  read_only
        .address_space:  global
        .offset:         0
        .size:           8
        .value_kind:     global_buffer
      - .actual_access:  write_only
        .address_space:  global
        .offset:         8
        .size:           8
        .value_kind:     global_buffer
      - .offset:         16
        .size:           4
        .value_kind:     hidden_block_count_x
      - .offset:         20
        .size:           4
        .value_kind:     hidden_block_count_y
      - .offset:         24
        .size:           4
        .value_kind:     hidden_block_count_z
      - .offset:         28
        .size:           2
        .value_kind:     hidden_group_size_x
      - .offset:         30
        .size:           2
        .value_kind:     hidden_group_size_y
      - .offset:         32
        .size:           2
        .value_kind:     hidden_group_size_z
      - .offset:         34
        .size:           2
        .value_kind:     hidden_remainder_x
      - .offset:         36
        .size:           2
        .value_kind:     hidden_remainder_y
      - .offset:         38
        .size:           2
        .value_kind:     hidden_remainder_z
      - .offset:         56
        .size:           8
        .value_kind:     hidden_global_offset_x
      - .offset:         64
        .size:           8
        .value_kind:     hidden_global_offset_y
      - .offset:         72
        .size:           8
        .value_kind:     hidden_global_offset_z
      - .offset:         80
        .size:           2
        .value_kind:     hidden_grid_dims
    .group_segment_fixed_size: 0
    .kernarg_segment_align: 8
    .kernarg_segment_size: 272
    .language:       OpenCL C
    .language_version:
      - 2
      - 0
    .max_flat_workgroup_size: 1024
    .name:           _Z9SoAKernelILi4096EEvPK13ApplesOnTreesPi
    .private_segment_fixed_size: 0
    .sgpr_count:     44
    .sgpr_spill_count: 0
    .symbol:         _Z9SoAKernelILi4096EEvPK13ApplesOnTreesPi.kd
    .uniform_work_group_size: 1
    .uses_dynamic_stack: false
    .vgpr_count:     53
    .vgpr_spill_count: 0
    .wavefront_size: 64
amdhsa.target:   amdgcn-amd-amdhsa--gfx90a
amdhsa.version:
  - 1
  - 2
...

	.end_amdgpu_metadata
